;; amdgpu-corpus repo=ROCm/MIOpen kind=compiled arch=gfx1250 opt=O3
	.amdgcn_target "amdgcn-amd-amdhsa--gfx1250"
	.amdhsa_code_object_version 6
	.text
	.protected	GroupNormFwdContiguous  ; -- Begin function GroupNormFwdContiguous
	.globl	GroupNormFwdContiguous
	.p2align	8
	.type	GroupNormFwdContiguous,@function
GroupNormFwdContiguous:                 ; @GroupNormFwdContiguous
; %bb.0:
	s_clause 0x1
	s_load_b128 s[4:7], s[0:1], 0x38
	s_load_b64 s[16:17], s[0:1], 0x48
	s_wait_kmcnt 0x0
	s_mul_u64 s[2:3], s[16:17], s[6:7]
	s_delay_alu instid0(SALU_CYCLE_1) | instskip(NEXT) | instid1(SALU_CYCLE_1)
	s_or_b64 s[8:9], s[2:3], s[4:5]
	s_and_b64 s[8:9], s[8:9], 0xffffffff00000000
	s_delay_alu instid0(SALU_CYCLE_1)
	s_cmp_lg_u64 s[8:9], 0
	s_cbranch_scc0 .LBB0_46
; %bb.1:
	s_cvt_f32_u32 s8, s4
	s_cvt_f32_u32 s9, s5
	s_sub_nc_u64 s[12:13], 0, s[4:5]
	s_delay_alu instid0(SALU_CYCLE_2) | instskip(NEXT) | instid1(SALU_CYCLE_3)
	s_fmamk_f32 s8, s9, 0x4f800000, s8
	v_s_rcp_f32 s8, s8
	s_delay_alu instid0(TRANS32_DEP_1) | instskip(NEXT) | instid1(SALU_CYCLE_3)
	s_mul_f32 s8, s8, 0x5f7ffffc
	s_mul_f32 s9, s8, 0x2f800000
	s_delay_alu instid0(SALU_CYCLE_3) | instskip(NEXT) | instid1(SALU_CYCLE_3)
	s_trunc_f32 s9, s9
	s_fmamk_f32 s8, s9, 0xcf800000, s8
	s_cvt_u32_f32 s11, s9
	s_mov_b32 s9, 0
	s_delay_alu instid0(SALU_CYCLE_1) | instskip(NEXT) | instid1(SALU_CYCLE_3)
	s_cvt_u32_f32 s10, s8
	s_mul_u64 s[14:15], s[12:13], s[10:11]
	s_delay_alu instid0(SALU_CYCLE_1)
	s_mul_hi_u32 s19, s10, s15
	s_mul_i32 s18, s10, s15
	s_mul_hi_u32 s8, s10, s14
	s_mul_i32 s21, s11, s14
	s_add_nc_u64 s[18:19], s[8:9], s[18:19]
	s_mul_hi_u32 s20, s11, s14
	s_mul_hi_u32 s22, s11, s15
	s_add_co_u32 s8, s18, s21
	s_add_co_ci_u32 s8, s19, s20
	s_mul_i32 s14, s11, s15
	s_add_co_ci_u32 s15, s22, 0
	s_delay_alu instid0(SALU_CYCLE_1) | instskip(NEXT) | instid1(SALU_CYCLE_1)
	s_add_nc_u64 s[14:15], s[8:9], s[14:15]
	s_add_co_u32 s10, s10, s14
	s_cselect_b32 s8, -1, 0
	s_delay_alu instid0(SALU_CYCLE_1) | instskip(SKIP_1) | instid1(SALU_CYCLE_1)
	s_cmp_lg_u32 s8, 0
	s_add_co_ci_u32 s11, s11, s15
	s_mul_u64 s[12:13], s[12:13], s[10:11]
	s_delay_alu instid0(SALU_CYCLE_1)
	s_mul_hi_u32 s15, s10, s13
	s_mul_i32 s14, s10, s13
	s_mul_hi_u32 s8, s10, s12
	s_mul_i32 s19, s11, s12
	s_add_nc_u64 s[14:15], s[8:9], s[14:15]
	s_mul_hi_u32 s18, s11, s12
	s_mul_hi_u32 s20, s11, s13
	s_add_co_u32 s8, s14, s19
	s_add_co_ci_u32 s8, s15, s18
	s_mul_i32 s12, s11, s13
	s_add_co_ci_u32 s13, s20, 0
	s_delay_alu instid0(SALU_CYCLE_1) | instskip(NEXT) | instid1(SALU_CYCLE_1)
	s_add_nc_u64 s[12:13], s[8:9], s[12:13]
	s_add_co_u32 s10, s10, s12
	s_cselect_b32 s12, -1, 0
	s_mul_hi_u32 s8, s2, s10
	s_cmp_lg_u32 s12, 0
	s_mul_hi_u32 s14, s3, s10
	s_add_co_ci_u32 s12, s11, s13
	s_mul_i32 s13, s3, s10
	s_mul_hi_u32 s11, s2, s12
	s_mul_i32 s10, s2, s12
	s_mul_hi_u32 s15, s3, s12
	s_add_nc_u64 s[10:11], s[8:9], s[10:11]
	s_mul_i32 s12, s3, s12
	s_add_co_u32 s8, s10, s13
	s_add_co_ci_u32 s8, s11, s14
	s_add_co_ci_u32 s13, s15, 0
	s_delay_alu instid0(SALU_CYCLE_1) | instskip(NEXT) | instid1(SALU_CYCLE_1)
	s_add_nc_u64 s[10:11], s[8:9], s[12:13]
	s_and_b64 s[12:13], s[10:11], 0xffffffff00000000
	s_delay_alu instid0(SALU_CYCLE_1) | instskip(NEXT) | instid1(SALU_CYCLE_1)
	s_or_b32 s12, s12, s10
	s_mul_u64 s[10:11], s[4:5], s[12:13]
	s_delay_alu instid0(SALU_CYCLE_1)
	s_sub_co_u32 s8, s2, s10
	s_cselect_b32 s10, -1, 0
	s_sub_co_i32 s14, s3, s11
	s_cmp_lg_u32 s10, 0
	s_sub_co_ci_u32 s14, s14, s5
	s_sub_co_u32 s15, s8, s4
	s_cselect_b32 s18, -1, 0
	s_delay_alu instid0(SALU_CYCLE_1) | instskip(SKIP_1) | instid1(SALU_CYCLE_1)
	s_cmp_lg_u32 s18, 0
	s_sub_co_ci_u32 s14, s14, 0
	s_cmp_ge_u32 s14, s5
	s_cselect_b32 s18, -1, 0
	s_cmp_ge_u32 s15, s4
	s_cselect_b32 s19, -1, 0
	s_cmp_eq_u32 s14, s5
	s_add_nc_u64 s[14:15], s[12:13], 1
	s_cselect_b32 s20, s19, s18
	s_add_nc_u64 s[18:19], s[12:13], 2
	s_cmp_lg_u32 s20, 0
	s_cselect_b32 s14, s18, s14
	s_cselect_b32 s15, s19, s15
	s_cmp_lg_u32 s10, 0
	s_sub_co_ci_u32 s3, s3, s11
	s_delay_alu instid0(SALU_CYCLE_1)
	s_cmp_ge_u32 s3, s5
	s_cselect_b32 s10, -1, 0
	s_cmp_ge_u32 s8, s4
	s_cselect_b32 s8, -1, 0
	s_cmp_eq_u32 s3, s5
	s_cselect_b32 s3, s8, s10
	s_delay_alu instid0(SALU_CYCLE_1)
	s_cmp_lg_u32 s3, 0
	s_cselect_b32 s19, s15, s13
	s_cselect_b32 s18, s14, s12
	s_cbranch_execnz .LBB0_3
.LBB0_2:
	v_cvt_f32_u32_e32 v1, s4
	s_sub_co_i32 s5, 0, s4
	s_mov_b32 s19, 0
	s_delay_alu instid0(VALU_DEP_1) | instskip(SKIP_1) | instid1(TRANS32_DEP_1)
	v_rcp_iflag_f32_e32 v1, v1
	v_nop
	v_mul_f32_e32 v1, 0x4f7ffffe, v1
	s_delay_alu instid0(VALU_DEP_1) | instskip(NEXT) | instid1(VALU_DEP_1)
	v_cvt_u32_f32_e32 v1, v1
	v_readfirstlane_b32 s3, v1
	s_mul_i32 s5, s5, s3
	s_delay_alu instid0(SALU_CYCLE_1) | instskip(NEXT) | instid1(SALU_CYCLE_1)
	s_mul_hi_u32 s5, s3, s5
	s_add_co_i32 s3, s3, s5
	s_delay_alu instid0(SALU_CYCLE_1) | instskip(NEXT) | instid1(SALU_CYCLE_1)
	s_mul_hi_u32 s3, s2, s3
	s_mul_i32 s5, s3, s4
	s_delay_alu instid0(SALU_CYCLE_1)
	s_sub_co_i32 s2, s2, s5
	s_add_co_i32 s5, s3, 1
	s_sub_co_i32 s8, s2, s4
	s_cmp_ge_u32 s2, s4
	s_cselect_b32 s3, s5, s3
	s_cselect_b32 s2, s8, s2
	s_add_co_i32 s5, s3, 1
	s_cmp_ge_u32 s2, s4
	s_cselect_b32 s18, s5, s3
.LBB0_3:
	s_load_b64 s[20:21], s[0:1], 0x0
	s_bfe_u32 s2, ttmp6, 0x4000c
	v_mov_b32_e32 v1, 0
	s_add_co_i32 s2, s2, 1
	s_and_b32 s3, ttmp6, 15
	s_mul_i32 s2, ttmp9, s2
	s_getreg_b32 s4, hwreg(HW_REG_IB_STS2, 6, 4)
	s_add_co_i32 s3, s3, s2
	v_cmp_gt_u64_e64 s2, s[18:19], v[0:1]
	s_cmp_eq_u32 s4, 0
	v_dual_mov_b32 v3, v1 :: v_dual_mov_b32 v2, v1
	s_mov_b32 s25, 0
	s_cselect_b32 s24, ttmp9, s3
	s_delay_alu instid0(SALU_CYCLE_1)
	s_mul_u64 s[22:23], s[18:19], s[24:25]
	s_and_saveexec_b32 s3, s2
	s_cbranch_execz .LBB0_7
; %bb.4:
	v_mov_b32_e32 v2, 0
	v_mov_b64_e32 v[4:5], v[0:1]
	s_lshl_b64 s[4:5], s[22:23], 2
	s_mov_b32 s8, s25
	s_wait_kmcnt 0x0
	s_add_nc_u64 s[4:5], s[20:21], s[4:5]
	v_mov_b32_e32 v3, v2
.LBB0_5:                                ; =>This Inner Loop Header: Depth=1
	s_delay_alu instid0(VALU_DEP_2)
	v_lshl_add_u64 v[6:7], v[4:5], 2, s[4:5]
	v_add_nc_u64_e32 v[4:5], 0x100, v[4:5]
	global_load_b32 v7, v[6:7], off
	v_cmp_le_u64_e32 vcc_lo, s[18:19], v[4:5]
	s_or_b32 s8, vcc_lo, s8
	s_wait_loadcnt 0x0
	v_mul_f32_e32 v6, v7, v7
	s_delay_alu instid0(VALU_DEP_1)
	v_pk_add_f32 v[2:3], v[2:3], v[6:7]
	s_and_not1_b32 exec_lo, exec_lo, s8
	s_cbranch_execnz .LBB0_5
; %bb.6:
	s_or_b32 exec_lo, exec_lo, s8
.LBB0_7:
	s_delay_alu instid0(SALU_CYCLE_1)
	s_or_b32 exec_lo, exec_lo, s3
	s_clause 0x1
	s_load_b256 s[8:15], s[0:1], 0x8
	s_load_b64 s[26:27], s[0:1], 0x28
	v_lshlrev_b32_e32 v4, 2, v0
	s_mov_b32 s3, exec_lo
	s_delay_alu instid0(VALU_DEP_1)
	v_add_nc_u32_e32 v5, 0x400, v4
	ds_store_2addr_stride64_b32 v4, v3, v2 offset1:4
	s_wait_dscnt 0x0
	s_barrier_signal -1
	s_barrier_wait -1
	v_cmpx_gt_u32_e32 0x80, v0
	s_cbranch_execz .LBB0_9
; %bb.8:
	ds_load_2addr_stride64_b32 v[2:3], v4 offset1:2
	ds_load_2addr_stride64_b32 v[6:7], v5 offset1:2
	s_wait_dscnt 0x1
	v_add_f32_e32 v2, v3, v2
	s_wait_dscnt 0x0
	v_add_f32_e32 v3, v7, v6
	ds_store_b32 v4, v2
	ds_store_b32 v5, v3
.LBB0_9:
	s_or_b32 exec_lo, exec_lo, s3
	s_delay_alu instid0(SALU_CYCLE_1)
	s_mov_b32 s3, exec_lo
	s_wait_dscnt 0x0
	s_barrier_signal -1
	s_barrier_wait -1
	v_cmpx_gt_u32_e32 64, v0
	s_cbranch_execz .LBB0_11
; %bb.10:
	ds_load_2addr_stride64_b32 v[2:3], v4 offset1:1
	ds_load_2addr_stride64_b32 v[6:7], v5 offset1:1
	s_wait_dscnt 0x1
	v_add_f32_e32 v2, v3, v2
	s_wait_dscnt 0x0
	v_add_f32_e32 v3, v7, v6
	ds_store_b32 v4, v2
	ds_store_b32 v5, v3
.LBB0_11:
	s_or_b32 exec_lo, exec_lo, s3
	s_delay_alu instid0(SALU_CYCLE_1)
	s_mov_b32 s3, exec_lo
	s_wait_dscnt 0x0
	s_barrier_signal -1
	s_barrier_wait -1
	v_cmpx_gt_u32_e32 32, v0
	s_cbranch_execz .LBB0_13
; %bb.12:
	ds_load_2addr_b32 v[2:3], v4 offset1:32
	ds_load_2addr_b32 v[6:7], v5 offset1:32
	s_wait_dscnt 0x1
	v_add_f32_e32 v2, v3, v2
	s_wait_dscnt 0x0
	v_add_f32_e32 v3, v7, v6
	ds_store_b32 v4, v2
	ds_store_b32 v5, v3
.LBB0_13:
	s_or_b32 exec_lo, exec_lo, s3
	s_delay_alu instid0(SALU_CYCLE_1)
	s_mov_b32 s3, exec_lo
	s_wait_dscnt 0x0
	s_barrier_signal -1
	s_barrier_wait -1
	v_cmpx_gt_u32_e32 16, v0
	s_cbranch_execz .LBB0_15
; %bb.14:
	ds_load_2addr_b32 v[2:3], v4 offset1:16
	ds_load_2addr_b32 v[6:7], v5 offset1:16
	s_wait_dscnt 0x1
	v_add_f32_e32 v2, v3, v2
	s_wait_dscnt 0x0
	v_add_f32_e32 v3, v7, v6
	ds_store_b32 v4, v2
	ds_store_b32 v5, v3
.LBB0_15:
	;; [unrolled: 18-line block ×5, first 2 shown]
	s_or_b32 exec_lo, exec_lo, s3
	v_cmp_eq_u32_e64 s3, 0, v0
	s_wait_dscnt 0x0
	s_barrier_signal -1
	s_barrier_wait -1
	s_and_saveexec_b32 s4, s3
	s_cbranch_execz .LBB0_23
; %bb.22:
	v_add_nc_u32_e64 v2, 4, 0
	ds_load_2addr_stride64_b32 v[2:3], v2 offset1:4
	ds_load_b32 v6, v4
	ds_load_b32 v7, v5
	s_wait_dscnt 0x0
	v_dual_add_f32 v2, v2, v6 :: v_dual_add_f32 v3, v3, v7
	ds_store_b32 v4, v2
	ds_store_b32 v5, v3
.LBB0_23:
	s_or_b32 exec_lo, exec_lo, s4
	v_mov_b32_e32 v2, 0
	s_wait_dscnt 0x0
	s_barrier_signal -1
	s_barrier_wait -1
	ds_load_2addr_stride64_b32 v[2:3], v2 offset1:4
	s_clz_i32_u32 s4, s19
	s_delay_alu instid0(SALU_CYCLE_1) | instskip(NEXT) | instid1(SALU_CYCLE_1)
	s_min_u32 s28, s4, 32
	s_lshl_b64 s[4:5], s[18:19], s28
	s_delay_alu instid0(SALU_CYCLE_1) | instskip(NEXT) | instid1(SALU_CYCLE_1)
	s_min_u32 s4, s4, 1
	s_or_b32 s4, s5, s4
	s_sub_co_i32 s5, 32, s28
	s_cvt_f32_u32 s4, s4
	s_delay_alu instid0(SALU_CYCLE_3) | instskip(SKIP_2) | instid1(VALU_DEP_1)
	v_ldexp_f32 v4, s4, s5
	s_load_b32 s5, s[0:1], 0x30
	s_wait_dscnt 0x0
	v_div_scale_f32 v5, null, v4, v4, v2
	v_div_scale_f32 v6, null, v4, v4, v3
	v_div_scale_f32 v11, vcc_lo, v2, v4, v2
	s_delay_alu instid0(VALU_DEP_3)
	v_rcp_f32_e32 v7, v5
	v_nop
	v_xor_b32_e32 v5, 0x80000000, v5
	v_rcp_f32_e32 v8, v6
	v_nop
	v_xor_b32_e32 v6, 0x80000000, v6
	s_delay_alu instid0(TRANS32_DEP_2) | instid1(VALU_DEP_3)
	v_fma_f32 v9, v5, v7, 1.0
	s_delay_alu instid0(TRANS32_DEP_1) | instid1(VALU_DEP_2)
	v_fma_f32 v10, v6, v8, 1.0
	s_delay_alu instid0(VALU_DEP_2) | instskip(SKIP_1) | instid1(VALU_DEP_2)
	v_fmac_f32_e32 v7, v9, v7
	v_div_scale_f32 v9, s4, v3, v4, v3
	v_dual_fmac_f32 v8, v10, v8 :: v_dual_mul_f32 v10, v11, v7
	s_delay_alu instid0(VALU_DEP_1) | instskip(NEXT) | instid1(VALU_DEP_1)
	v_fma_f32 v13, v5, v10, v11
	v_fmac_f32_e32 v10, v13, v7
	s_delay_alu instid0(VALU_DEP_1) | instskip(NEXT) | instid1(VALU_DEP_1)
	v_fmac_f32_e32 v11, v5, v10
	v_div_fmas_f32 v5, v11, v7, v10
	s_mov_b32 vcc_lo, s4
	s_delay_alu instid0(VALU_DEP_1) | instskip(SKIP_1) | instid1(VALU_DEP_1)
	v_div_fixup_f32 v10, v5, v4, v2
	v_mul_f32_e32 v12, v9, v8
	v_fma_f32 v14, v6, v12, v9
	s_delay_alu instid0(VALU_DEP_1) | instskip(NEXT) | instid1(VALU_DEP_1)
	v_fmac_f32_e32 v12, v14, v8
	v_fmac_f32_e32 v9, v6, v12
	s_delay_alu instid0(VALU_DEP_1) | instskip(SKIP_1) | instid1(VALU_DEP_2)
	v_div_fmas_f32 v6, v9, v8, v12
	v_mov_b64_e32 v[8:9], 0.5
	v_div_fixup_f32 v2, v6, v4, v3
	v_xor_b32_e32 v3, 0x80000000, v10
	s_delay_alu instid0(VALU_DEP_1) | instskip(SKIP_1) | instid1(VALU_DEP_1)
	v_fmac_f32_e32 v2, v3, v10
	s_wait_kmcnt 0x0
	v_add_f32_e32 v2, s5, v2
	s_delay_alu instid0(VALU_DEP_1) | instskip(NEXT) | instid1(VALU_DEP_1)
	v_cvt_f64_f32_e32 v[2:3], v2
	v_rsq_f64_e32 v[4:5], v[2:3]
	v_nop
	s_delay_alu instid0(TRANS32_DEP_1) | instskip(SKIP_1) | instid1(VALU_DEP_2)
	v_mul_f64_e64 v[2:3], v[4:5], -v[2:3]
	v_cmp_class_f64_e64 vcc_lo, v[4:5], 0x180
	v_fma_f64 v[2:3], v[2:3], v[4:5], 1.0
	s_delay_alu instid0(VALU_DEP_1) | instskip(SKIP_1) | instid1(VALU_DEP_1)
	v_mul_f64_e32 v[6:7], v[4:5], v[2:3]
	v_fmamk_f64 v[2:3], v[2:3], 0x3fd80000, v[8:9]
	v_fma_f64 v[2:3], v[6:7], v[2:3], v[4:5]
	s_delay_alu instid0(VALU_DEP_1) | instskip(NEXT) | instid1(VALU_DEP_1)
	v_dual_cndmask_b32 v3, v5, v3 :: v_dual_cndmask_b32 v2, v4, v2
	v_cvt_f32_f64_e32 v11, v[2:3]
	s_and_saveexec_b32 s4, s3
	s_cbranch_execz .LBB0_28
; %bb.24:
	s_cmp_eq_u64 s[14:15], 0
	s_cbranch_scc1 .LBB0_26
; %bb.25:
	v_mov_b32_e32 v2, 0
	s_lshl_b64 s[28:29], s[24:25], 2
	s_delay_alu instid0(SALU_CYCLE_1)
	s_add_nc_u64 s[14:15], s[14:15], s[28:29]
	global_store_b32 v2, v10, s[14:15]
.LBB0_26:
	s_cmp_eq_u64 s[26:27], 0
	s_cbranch_scc1 .LBB0_28
; %bb.27:
	s_wait_xcnt 0x0
	v_mov_b32_e32 v2, 0
	s_lshl_b64 s[14:15], s[24:25], 2
	s_delay_alu instid0(SALU_CYCLE_1)
	s_add_nc_u64 s[14:15], s[26:27], s[14:15]
	global_store_b32 v2, v11, s[14:15]
.LBB0_28:
	s_wait_xcnt 0x0
	s_or_b32 exec_lo, exec_lo, s4
	s_and_saveexec_b32 s3, s2
	s_cbranch_execz .LBB0_45
; %bb.29:
	s_load_b32 s0, s[0:1], 0x50
	v_cvt_f32_u32_e32 v2, s16
	s_wait_xcnt 0x0
	s_cvt_f32_u32 s1, s16
	s_cvt_f32_u32 s2, s17
	;; [unrolled: 1-line block ×4, first 2 shown]
	v_rcp_iflag_f32_e32 v2, v2
	s_fmamk_f32 s1, s2, 0x4f800000, s1
	s_mov_b32 s30, 0
	s_fmamk_f32 s2, s4, 0x4f800000, s3
	s_delay_alu instid0(SALU_CYCLE_1) | instskip(NEXT) | instid1(TRANS32_DEP_2)
	v_s_rcp_f32 s1, s1
	v_mul_f32_e32 v2, 0x4f7ffffe, v2
	s_delay_alu instid0(VALU_DEP_1) | instskip(NEXT) | instid1(TRANS32_DEP_1)
	v_cvt_u32_f32_e32 v3, v2
	s_mul_f32 s24, s1, 0x5f7ffffc
	s_wait_kmcnt 0x0
	s_bitcmp1_b32 s0, 0
	v_s_rcp_f32 s0, s2
	s_cselect_b32 s28, -1, 0
	s_sub_co_i32 s2, 0, s16
	s_mul_f32 s4, s24, 0x2f800000
	v_mul_lo_u32 v4, s2, v3
	s_mov_b32 s1, 0
	s_sub_nc_u64 s[2:3], 0, s[16:17]
	s_trunc_f32 s25, s4
	s_mul_f32 s0, s0, 0x5f7ffffc
	s_mov_b64 s[4:5], 0xffffffff
	s_sub_co_i32 s29, 0, s6
	s_fmamk_f32 s24, s25, 0xcf800000, s24
	s_mul_f32 s14, s0, 0x2f800000
	s_cvt_u32_f32 s25, s25
	s_delay_alu instid0(VALU_DEP_1) | instskip(NEXT) | instid1(SALU_CYCLE_1)
	v_mul_hi_u32 v4, v3, v4
	s_trunc_f32 s27, s14
	v_mov_b32_e32 v2, 0
	s_cvt_u32_f32 s24, s24
	s_sub_nc_u64 s[14:15], 0, s[6:7]
	s_fmamk_f32 s0, s27, 0xcf800000, s0
	s_cvt_u32_f32 s27, s27
	s_delay_alu instid0(SALU_CYCLE_2) | instskip(NEXT) | instid1(VALU_DEP_2)
	s_cvt_u32_f32 s26, s0
	v_add_nc_u32_e32 v12, v3, v4
	s_branch .LBB0_31
.LBB0_30:                               ;   in Loop: Header=BB0_31 Depth=1
	v_lshlrev_b64_e32 v[4:5], 2, v[4:5]
	v_add_nc_u64_e32 v[0:1], 0x100, v[0:1]
	s_delay_alu instid0(VALU_DEP_2) | instskip(NEXT) | instid1(VALU_DEP_2)
	v_add_nc_u64_e32 v[8:9], s[20:21], v[4:5]
	v_cmp_le_u64_e32 vcc_lo, s[18:19], v[0:1]
	v_add_nc_u64_e32 v[4:5], s[12:13], v[4:5]
	global_load_b32 v7, v[8:9], off
	s_or_b32 s30, vcc_lo, s30
	s_wait_loadcnt 0x0
	v_sub_f32_e32 v7, v7, v10
	s_delay_alu instid0(VALU_DEP_1) | instskip(NEXT) | instid1(VALU_DEP_1)
	v_mul_f32_e32 v7, v7, v11
	v_fmac_f32_e32 v6, v3, v7
	global_store_b32 v[4:5], v6, off
	s_wait_xcnt 0x0
	s_and_not1_b32 exec_lo, exec_lo, s30
	s_cbranch_execz .LBB0_45
.LBB0_31:                               ; =>This Inner Loop Header: Depth=1
	v_add_nc_u64_e32 v[4:5], s[22:23], v[0:1]
	v_mov_b64_e32 v[8:9], 0
	s_and_not1_b32 vcc_lo, exec_lo, s28
	s_cbranch_vccz .LBB0_34
; %bb.32:                               ;   in Loop: Header=BB0_31 Depth=1
	v_mov_b32_e32 v3, 1.0
	s_and_not1_b32 vcc_lo, exec_lo, s28
	s_cbranch_vccz .LBB0_43
.LBB0_33:                               ;   in Loop: Header=BB0_31 Depth=1
	v_mov_b32_e32 v6, 0
	s_and_not1_b32 vcc_lo, exec_lo, s28
	s_cbranch_vccnz .LBB0_30
	s_branch .LBB0_44
.LBB0_34:                               ;   in Loop: Header=BB0_31 Depth=1
	s_delay_alu instid0(VALU_DEP_2) | instskip(SKIP_1) | instid1(VALU_DEP_1)
	v_or_b32_e32 v3, s17, v5
                                        ; implicit-def: $vgpr6_vgpr7
	s_mov_b32 s0, exec_lo
	v_cmpx_ne_u64_e32 0, v[2:3]
	s_xor_b32 s31, exec_lo, s0
	s_cbranch_execz .LBB0_36
; %bb.35:                               ;   in Loop: Header=BB0_31 Depth=1
	s_mul_u64 s[34:35], s[2:3], s[24:25]
	v_dual_mov_b32 v6, v4 :: v_dual_mov_b32 v7, v2
	s_mul_hi_u32 s37, s24, s35
	s_mul_i32 s36, s24, s35
	s_mul_hi_u32 s0, s24, s34
	s_mul_i32 s33, s25, s34
	s_add_nc_u64 s[36:37], s[0:1], s[36:37]
	s_mul_hi_u32 s0, s25, s34
	s_mul_hi_u32 s34, s25, s35
	s_add_co_u32 s33, s36, s33
	s_add_co_ci_u32 s0, s37, s0
	s_add_co_ci_u32 s37, s34, 0
	s_mul_i32 s36, s25, s35
	v_dual_mov_b32 v8, v5 :: v_dual_mov_b32 v9, v2
	s_add_nc_u64 s[34:35], s[0:1], s[36:37]
	v_mov_b32_e32 v17, v2
	s_add_co_u32 s34, s24, s34
	s_cselect_b32 s0, -1, 0
	s_delay_alu instid0(SALU_CYCLE_1) | instskip(SKIP_1) | instid1(SALU_CYCLE_1)
	s_cmp_lg_u32 s0, 0
	s_add_co_ci_u32 s35, s25, s35
	s_mul_u64 s[36:37], s[2:3], s[34:35]
	s_delay_alu instid0(SALU_CYCLE_1)
	s_mul_hi_u32 s39, s34, s37
	s_mul_i32 s38, s34, s37
	s_mul_hi_u32 s0, s34, s36
	s_mul_hi_u32 s33, s35, s36
	s_mul_i32 s36, s35, s36
	s_add_nc_u64 s[38:39], s[0:1], s[38:39]
	s_mul_hi_u32 s40, s35, s37
	s_add_co_u32 s0, s38, s36
	s_add_co_ci_u32 s0, s39, s33
	s_mul_i32 s36, s35, s37
	s_add_co_ci_u32 s37, s40, 0
	s_delay_alu instid0(SALU_CYCLE_1) | instskip(NEXT) | instid1(SALU_CYCLE_1)
	s_add_nc_u64 s[36:37], s[0:1], s[36:37]
	s_add_co_u32 s34, s34, s36
	s_cselect_b32 s0, -1, 0
	v_mul_hi_u32 v16, v4, s34
	s_cmp_lg_u32 s0, 0
	s_add_co_ci_u32 s0, s35, s37
	s_and_b64 s[36:37], s[34:35], s[4:5]
	v_mul_u64_e32 v[6:7], s[0:1], v[6:7]
	v_mul_u64_e32 v[14:15], s[36:37], v[8:9]
	;; [unrolled: 1-line block ×3, first 2 shown]
	s_delay_alu instid0(VALU_DEP_3) | instskip(NEXT) | instid1(VALU_DEP_1)
	v_add_nc_u64_e32 v[6:7], v[16:17], v[6:7]
	v_add_co_u32 v3, vcc_lo, v6, v14
	s_delay_alu instid0(VALU_DEP_2) | instskip(NEXT) | instid1(VALU_DEP_4)
	v_add_co_ci_u32_e32 v16, vcc_lo, v7, v15, vcc_lo
	v_add_co_ci_u32_e32 v9, vcc_lo, 0, v9, vcc_lo
	s_delay_alu instid0(VALU_DEP_1) | instskip(NEXT) | instid1(VALU_DEP_1)
	v_add_nc_u64_e32 v[6:7], v[16:17], v[8:9]
	v_mul_u64_e32 v[8:9], s[16:17], v[6:7]
	v_add_nc_u64_e32 v[14:15], 2, v[6:7]
	s_delay_alu instid0(VALU_DEP_2) | instskip(NEXT) | instid1(VALU_DEP_3)
	v_sub_nc_u32_e32 v3, v5, v9
	v_sub_co_u32 v8, vcc_lo, v4, v8
	s_delay_alu instid0(VALU_DEP_1) | instskip(NEXT) | instid1(VALU_DEP_3)
	v_sub_co_ci_u32_e64 v17, null, v5, v9, vcc_lo
	v_subrev_co_ci_u32_e64 v3, null, s17, v3, vcc_lo
	s_delay_alu instid0(VALU_DEP_3) | instskip(SKIP_1) | instid1(VALU_DEP_3)
	v_sub_co_u32 v13, s0, v8, s16
	v_cmp_le_u32_e32 vcc_lo, s16, v8
	v_subrev_co_ci_u32_e64 v3, null, 0, v3, s0
	s_delay_alu instid0(VALU_DEP_3) | instskip(SKIP_2) | instid1(VALU_DEP_4)
	v_cmp_le_u32_e64 s0, s16, v13
	v_add_nc_u64_e32 v[8:9], 1, v[6:7]
	v_cndmask_b32_e64 v18, 0, -1, vcc_lo
	v_cmp_eq_u32_e32 vcc_lo, s17, v3
	s_delay_alu instid0(VALU_DEP_4) | instskip(SKIP_1) | instid1(VALU_DEP_1)
	v_cndmask_b32_e64 v13, 0, -1, s0
	v_cmp_le_u32_e64 s0, s17, v3
	v_cndmask_b32_e64 v16, 0, -1, s0
	v_cmp_eq_u32_e64 s0, s17, v17
	s_delay_alu instid0(VALU_DEP_2) | instskip(SKIP_2) | instid1(VALU_DEP_3)
	v_cndmask_b32_e32 v3, v16, v13, vcc_lo
	v_cmp_le_u32_e32 vcc_lo, s17, v17
	v_cndmask_b32_e64 v13, 0, -1, vcc_lo
	v_cmp_ne_u32_e32 vcc_lo, 0, v3
	v_cndmask_b32_e32 v9, v9, v15, vcc_lo
	s_delay_alu instid0(VALU_DEP_3) | instskip(SKIP_1) | instid1(VALU_DEP_2)
	v_cndmask_b32_e64 v3, v13, v18, s0
	v_cndmask_b32_e32 v8, v8, v14, vcc_lo
	v_cmp_ne_u32_e32 vcc_lo, 0, v3
	s_delay_alu instid0(VALU_DEP_2)
	v_dual_cndmask_b32 v7, v7, v9 :: v_dual_cndmask_b32 v6, v6, v8
.LBB0_36:                               ;   in Loop: Header=BB0_31 Depth=1
	s_and_not1_saveexec_b32 s0, s31
	s_cbranch_execz .LBB0_38
; %bb.37:                               ;   in Loop: Header=BB0_31 Depth=1
	v_mul_hi_u32 v3, v4, v12
	s_delay_alu instid0(VALU_DEP_1) | instskip(NEXT) | instid1(VALU_DEP_1)
	v_mul_lo_u32 v6, v3, s16
	v_dual_add_nc_u32 v7, 1, v3 :: v_dual_sub_nc_u32 v6, v4, v6
	s_delay_alu instid0(VALU_DEP_1) | instskip(SKIP_1) | instid1(VALU_DEP_2)
	v_subrev_nc_u32_e32 v8, s16, v6
	v_cmp_le_u32_e32 vcc_lo, s16, v6
	v_dual_cndmask_b32 v6, v6, v8 :: v_dual_cndmask_b32 v3, v3, v7
	s_delay_alu instid0(VALU_DEP_1) | instskip(NEXT) | instid1(VALU_DEP_2)
	v_cmp_le_u32_e32 vcc_lo, s16, v6
	v_add_nc_u32_e32 v7, 1, v3
	s_delay_alu instid0(VALU_DEP_1)
	v_dual_cndmask_b32 v6, v3, v7 :: v_dual_mov_b32 v7, v2
.LBB0_38:                               ;   in Loop: Header=BB0_31 Depth=1
	s_or_b32 exec_lo, exec_lo, s0
	s_delay_alu instid0(VALU_DEP_1) | instskip(SKIP_1) | instid1(VALU_DEP_1)
	v_or_b32_e32 v3, s7, v7
                                        ; implicit-def: $vgpr8_vgpr9
	s_mov_b32 s0, exec_lo
	v_cmpx_ne_u64_e32 0, v[2:3]
	s_xor_b32 s31, exec_lo, s0
	s_cbranch_execz .LBB0_40
; %bb.39:                               ;   in Loop: Header=BB0_31 Depth=1
	s_mul_u64 s[34:35], s[14:15], s[26:27]
	v_dual_mov_b32 v8, v6 :: v_dual_mov_b32 v9, v2
	s_mul_hi_u32 s37, s26, s35
	s_mul_i32 s36, s26, s35
	s_mul_hi_u32 s0, s26, s34
	s_mul_i32 s33, s27, s34
	s_add_nc_u64 s[36:37], s[0:1], s[36:37]
	s_mul_hi_u32 s0, s27, s34
	s_mul_hi_u32 s34, s27, s35
	s_add_co_u32 s33, s36, s33
	s_add_co_ci_u32 s0, s37, s0
	s_add_co_ci_u32 s37, s34, 0
	s_mul_i32 s36, s27, s35
	v_dual_mov_b32 v14, v7 :: v_dual_mov_b32 v15, v2
	s_add_nc_u64 s[34:35], s[0:1], s[36:37]
	v_mov_b32_e32 v19, v2
	s_add_co_u32 s34, s26, s34
	s_cselect_b32 s0, -1, 0
	s_delay_alu instid0(SALU_CYCLE_1) | instskip(SKIP_1) | instid1(SALU_CYCLE_1)
	s_cmp_lg_u32 s0, 0
	s_add_co_ci_u32 s35, s27, s35
	s_mul_u64 s[36:37], s[14:15], s[34:35]
	s_delay_alu instid0(SALU_CYCLE_1)
	s_mul_hi_u32 s39, s34, s37
	s_mul_i32 s38, s34, s37
	s_mul_hi_u32 s0, s34, s36
	s_mul_hi_u32 s33, s35, s36
	s_mul_i32 s36, s35, s36
	s_add_nc_u64 s[38:39], s[0:1], s[38:39]
	s_mul_hi_u32 s40, s35, s37
	s_add_co_u32 s0, s38, s36
	s_add_co_ci_u32 s0, s39, s33
	s_mul_i32 s36, s35, s37
	s_add_co_ci_u32 s37, s40, 0
	s_delay_alu instid0(SALU_CYCLE_1) | instskip(NEXT) | instid1(SALU_CYCLE_1)
	s_add_nc_u64 s[36:37], s[0:1], s[36:37]
	s_add_co_u32 s34, s34, s36
	s_cselect_b32 s0, -1, 0
	v_mul_hi_u32 v18, v6, s34
	s_cmp_lg_u32 s0, 0
	s_add_co_ci_u32 s0, s35, s37
	s_and_b64 s[36:37], s[34:35], s[4:5]
	v_mul_u64_e32 v[8:9], s[0:1], v[8:9]
	v_mul_u64_e32 v[16:17], s[36:37], v[14:15]
	;; [unrolled: 1-line block ×3, first 2 shown]
	s_delay_alu instid0(VALU_DEP_3) | instskip(NEXT) | instid1(VALU_DEP_1)
	v_add_nc_u64_e32 v[8:9], v[18:19], v[8:9]
	v_add_co_u32 v3, vcc_lo, v8, v16
	s_delay_alu instid0(VALU_DEP_2) | instskip(NEXT) | instid1(VALU_DEP_4)
	v_add_co_ci_u32_e32 v18, vcc_lo, v9, v17, vcc_lo
	v_add_co_ci_u32_e32 v15, vcc_lo, 0, v15, vcc_lo
	s_delay_alu instid0(VALU_DEP_1) | instskip(NEXT) | instid1(VALU_DEP_1)
	v_add_nc_u64_e32 v[8:9], v[18:19], v[14:15]
	v_mul_u64_e32 v[8:9], s[6:7], v[8:9]
	s_delay_alu instid0(VALU_DEP_1) | instskip(NEXT) | instid1(VALU_DEP_2)
	v_sub_nc_u32_e32 v3, v7, v9
	v_sub_co_u32 v6, vcc_lo, v6, v8
	s_delay_alu instid0(VALU_DEP_1) | instskip(NEXT) | instid1(VALU_DEP_3)
	v_sub_co_ci_u32_e64 v7, null, v7, v9, vcc_lo
	v_subrev_co_ci_u32_e64 v3, null, s7, v3, vcc_lo
	s_delay_alu instid0(VALU_DEP_3) | instskip(SKIP_1) | instid1(VALU_DEP_3)
	v_sub_co_u32 v8, vcc_lo, v6, s6
	v_cmp_le_u32_e64 s0, s6, v6
	v_subrev_co_ci_u32_e64 v9, null, 0, v3, vcc_lo
	v_subrev_co_ci_u32_e64 v3, null, s7, v3, vcc_lo
	s_delay_alu instid0(VALU_DEP_3) | instskip(SKIP_2) | instid1(VALU_DEP_2)
	v_cndmask_b32_e64 v13, 0, -1, s0
	v_cmp_le_u32_e64 s0, s6, v8
	v_cmp_le_u32_e32 vcc_lo, s7, v7
	v_cndmask_b32_e64 v14, 0, -1, s0
	v_cmp_le_u32_e64 s0, s7, v9
	v_cndmask_b32_e64 v16, 0, -1, vcc_lo
	v_cmp_eq_u32_e32 vcc_lo, s7, v9
	s_delay_alu instid0(VALU_DEP_3) | instskip(SKIP_1) | instid1(VALU_DEP_1)
	v_cndmask_b32_e64 v15, 0, -1, s0
	v_cmp_eq_u32_e64 s0, s7, v7
	v_dual_cndmask_b32 v14, v15, v14, vcc_lo :: v_dual_cndmask_b32 v13, v16, v13, s0
	v_sub_co_u32 v15, vcc_lo, v8, s6
	s_delay_alu instid0(VALU_DEP_1) | instskip(NEXT) | instid1(VALU_DEP_3)
	v_subrev_co_ci_u32_e64 v3, null, 0, v3, vcc_lo
	v_cmp_ne_u32_e32 vcc_lo, 0, v14
	s_delay_alu instid0(VALU_DEP_3) | instskip(NEXT) | instid1(VALU_DEP_3)
	v_cndmask_b32_e32 v8, v8, v15, vcc_lo
	v_cndmask_b32_e32 v3, v9, v3, vcc_lo
	v_cmp_ne_u32_e32 vcc_lo, 0, v13
	s_delay_alu instid0(VALU_DEP_2)
	v_dual_cndmask_b32 v8, v6, v8 :: v_dual_cndmask_b32 v9, v7, v3
                                        ; implicit-def: $vgpr6_vgpr7
.LBB0_40:                               ;   in Loop: Header=BB0_31 Depth=1
	s_and_not1_saveexec_b32 s0, s31
	s_cbranch_execz .LBB0_42
; %bb.41:                               ;   in Loop: Header=BB0_31 Depth=1
	v_cvt_f32_u32_e32 v3, s6
	v_mov_b32_e32 v9, v2
	s_delay_alu instid0(VALU_DEP_2) | instskip(SKIP_1) | instid1(TRANS32_DEP_1)
	v_rcp_iflag_f32_e32 v3, v3
	v_nop
	v_mul_f32_e32 v3, 0x4f7ffffe, v3
	s_delay_alu instid0(VALU_DEP_1) | instskip(NEXT) | instid1(VALU_DEP_1)
	v_cvt_u32_f32_e32 v3, v3
	v_mul_lo_u32 v7, s29, v3
	s_delay_alu instid0(VALU_DEP_1) | instskip(NEXT) | instid1(VALU_DEP_1)
	v_mul_hi_u32 v7, v3, v7
	v_add_nc_u32_e32 v3, v3, v7
	s_delay_alu instid0(VALU_DEP_1) | instskip(NEXT) | instid1(VALU_DEP_1)
	v_mul_hi_u32 v3, v6, v3
	v_mul_lo_u32 v3, v3, s6
	s_delay_alu instid0(VALU_DEP_1) | instskip(NEXT) | instid1(VALU_DEP_1)
	v_sub_nc_u32_e32 v3, v6, v3
	v_subrev_nc_u32_e32 v6, s6, v3
	v_cmp_le_u32_e32 vcc_lo, s6, v3
	s_delay_alu instid0(VALU_DEP_2) | instskip(NEXT) | instid1(VALU_DEP_1)
	v_cndmask_b32_e32 v3, v3, v6, vcc_lo
	v_subrev_nc_u32_e32 v6, s6, v3
	v_cmp_le_u32_e32 vcc_lo, s6, v3
	s_delay_alu instid0(VALU_DEP_2)
	v_cndmask_b32_e32 v8, v3, v6, vcc_lo
.LBB0_42:                               ;   in Loop: Header=BB0_31 Depth=1
	s_or_b32 exec_lo, exec_lo, s0
	v_mov_b32_e32 v3, 1.0
	s_and_not1_b32 vcc_lo, exec_lo, s28
	s_cbranch_vccnz .LBB0_33
.LBB0_43:                               ;   in Loop: Header=BB0_31 Depth=1
	s_delay_alu instid0(VALU_DEP_2)
	v_lshl_add_u64 v[6:7], v[8:9], 2, s[8:9]
	global_load_b32 v3, v[6:7], off
	s_wait_xcnt 0x0
	v_mov_b32_e32 v6, 0
	s_and_not1_b32 vcc_lo, exec_lo, s28
	s_cbranch_vccnz .LBB0_30
.LBB0_44:                               ;   in Loop: Header=BB0_31 Depth=1
	v_lshl_add_u64 v[6:7], v[8:9], 2, s[10:11]
	global_load_b32 v6, v[6:7], off
	s_branch .LBB0_30
.LBB0_45:
	s_endpgm
.LBB0_46:
                                        ; implicit-def: $sgpr18_sgpr19
	s_branch .LBB0_2
	.section	.rodata,"a",@progbits
	.p2align	6, 0x0
	.amdhsa_kernel GroupNormFwdContiguous
		.amdhsa_group_segment_fixed_size 2048
		.amdhsa_private_segment_fixed_size 0
		.amdhsa_kernarg_size 84
		.amdhsa_user_sgpr_count 2
		.amdhsa_user_sgpr_dispatch_ptr 0
		.amdhsa_user_sgpr_queue_ptr 0
		.amdhsa_user_sgpr_kernarg_segment_ptr 1
		.amdhsa_user_sgpr_dispatch_id 0
		.amdhsa_user_sgpr_kernarg_preload_length 0
		.amdhsa_user_sgpr_kernarg_preload_offset 0
		.amdhsa_user_sgpr_private_segment_size 0
		.amdhsa_wavefront_size32 1
		.amdhsa_uses_dynamic_stack 0
		.amdhsa_enable_private_segment 0
		.amdhsa_system_sgpr_workgroup_id_x 1
		.amdhsa_system_sgpr_workgroup_id_y 0
		.amdhsa_system_sgpr_workgroup_id_z 0
		.amdhsa_system_sgpr_workgroup_info 0
		.amdhsa_system_vgpr_workitem_id 0
		.amdhsa_next_free_vgpr 20
		.amdhsa_next_free_sgpr 41
		.amdhsa_named_barrier_count 0
		.amdhsa_reserve_vcc 1
		.amdhsa_float_round_mode_32 0
		.amdhsa_float_round_mode_16_64 0
		.amdhsa_float_denorm_mode_32 3
		.amdhsa_float_denorm_mode_16_64 3
		.amdhsa_fp16_overflow 0
		.amdhsa_memory_ordered 1
		.amdhsa_forward_progress 1
		.amdhsa_inst_pref_size 29
		.amdhsa_round_robin_scheduling 0
		.amdhsa_exception_fp_ieee_invalid_op 0
		.amdhsa_exception_fp_denorm_src 0
		.amdhsa_exception_fp_ieee_div_zero 0
		.amdhsa_exception_fp_ieee_overflow 0
		.amdhsa_exception_fp_ieee_underflow 0
		.amdhsa_exception_fp_ieee_inexact 0
		.amdhsa_exception_int_div_zero 0
	.end_amdhsa_kernel
	.text
.Lfunc_end0:
	.size	GroupNormFwdContiguous, .Lfunc_end0-GroupNormFwdContiguous
                                        ; -- End function
	.set GroupNormFwdContiguous.num_vgpr, 20
	.set GroupNormFwdContiguous.num_agpr, 0
	.set GroupNormFwdContiguous.numbered_sgpr, 41
	.set GroupNormFwdContiguous.num_named_barrier, 0
	.set GroupNormFwdContiguous.private_seg_size, 0
	.set GroupNormFwdContiguous.uses_vcc, 1
	.set GroupNormFwdContiguous.uses_flat_scratch, 0
	.set GroupNormFwdContiguous.has_dyn_sized_stack, 0
	.set GroupNormFwdContiguous.has_recursion, 0
	.set GroupNormFwdContiguous.has_indirect_call, 0
	.section	.AMDGPU.csdata,"",@progbits
; Kernel info:
; codeLenInByte = 3612
; TotalNumSgprs: 43
; NumVgprs: 20
; ScratchSize: 0
; MemoryBound: 0
; FloatMode: 240
; IeeeMode: 1
; LDSByteSize: 2048 bytes/workgroup (compile time only)
; SGPRBlocks: 0
; VGPRBlocks: 1
; NumSGPRsForWavesPerEU: 43
; NumVGPRsForWavesPerEU: 20
; NamedBarCnt: 0
; Occupancy: 16
; WaveLimiterHint : 0
; COMPUTE_PGM_RSRC2:SCRATCH_EN: 0
; COMPUTE_PGM_RSRC2:USER_SGPR: 2
; COMPUTE_PGM_RSRC2:TRAP_HANDLER: 0
; COMPUTE_PGM_RSRC2:TGID_X_EN: 1
; COMPUTE_PGM_RSRC2:TGID_Y_EN: 0
; COMPUTE_PGM_RSRC2:TGID_Z_EN: 0
; COMPUTE_PGM_RSRC2:TIDIG_COMP_CNT: 0
	.text
	.p2alignl 7, 3214868480
	.fill 96, 4, 3214868480
	.section	.AMDGPU.gpr_maximums,"",@progbits
	.set amdgpu.max_num_vgpr, 0
	.set amdgpu.max_num_agpr, 0
	.set amdgpu.max_num_sgpr, 0
	.text
	.type	__hip_cuid_9909bbff7f7d0cc7,@object ; @__hip_cuid_9909bbff7f7d0cc7
	.section	.bss,"aw",@nobits
	.globl	__hip_cuid_9909bbff7f7d0cc7
__hip_cuid_9909bbff7f7d0cc7:
	.byte	0                               ; 0x0
	.size	__hip_cuid_9909bbff7f7d0cc7, 1

	.ident	"AMD clang version 22.0.0git (https://github.com/RadeonOpenCompute/llvm-project roc-7.2.4 26084 f58b06dce1f9c15707c5f808fd002e18c2accf7e)"
	.section	".note.GNU-stack","",@progbits
	.addrsig
	.addrsig_sym __hip_cuid_9909bbff7f7d0cc7
	.amdgpu_metadata
---
amdhsa.kernels:
  - .args:
      - .actual_access:  read_only
        .address_space:  global
        .offset:         0
        .size:           8
        .value_kind:     global_buffer
      - .actual_access:  read_only
        .address_space:  global
        .offset:         8
        .size:           8
        .value_kind:     global_buffer
      - .actual_access:  read_only
        .address_space:  global
        .offset:         16
        .size:           8
        .value_kind:     global_buffer
      - .actual_access:  write_only
        .address_space:  global
        .offset:         24
        .size:           8
        .value_kind:     global_buffer
      - .actual_access:  write_only
        .address_space:  global
        .offset:         32
        .size:           8
        .value_kind:     global_buffer
      - .actual_access:  write_only
        .address_space:  global
        .offset:         40
        .size:           8
        .value_kind:     global_buffer
      - .offset:         48
        .size:           4
        .value_kind:     by_value
      - .offset:         56
        .size:           8
        .value_kind:     by_value
      - .offset:         64
        .size:           8
        .value_kind:     by_value
      - .offset:         72
        .size:           8
        .value_kind:     by_value
      - .offset:         80
        .size:           1
        .value_kind:     by_value
    .group_segment_fixed_size: 2048
    .kernarg_segment_align: 8
    .kernarg_segment_size: 84
    .language:       OpenCL C
    .language_version:
      - 2
      - 0
    .max_flat_workgroup_size: 1024
    .name:           GroupNormFwdContiguous
    .private_segment_fixed_size: 0
    .sgpr_count:     43
    .sgpr_spill_count: 0
    .symbol:         GroupNormFwdContiguous.kd
    .uniform_work_group_size: 1
    .uses_dynamic_stack: false
    .vgpr_count:     20
    .vgpr_spill_count: 0
    .wavefront_size: 32
amdhsa.target:   amdgcn-amd-amdhsa--gfx1250
amdhsa.version:
  - 1
  - 2
...

	.end_amdgpu_metadata
